;; amdgpu-corpus repo=ROCm/rocFFT kind=compiled arch=gfx1030 opt=O3
	.text
	.amdgcn_target "amdgcn-amd-amdhsa--gfx1030"
	.amdhsa_code_object_version 6
	.protected	fft_rtc_fwd_len240_factors_4_5_3_4_wgs_240_tpt_20_dim3_sp_ip_CI_sbcc_twdbase8_3step_dirReg ; -- Begin function fft_rtc_fwd_len240_factors_4_5_3_4_wgs_240_tpt_20_dim3_sp_ip_CI_sbcc_twdbase8_3step_dirReg
	.globl	fft_rtc_fwd_len240_factors_4_5_3_4_wgs_240_tpt_20_dim3_sp_ip_CI_sbcc_twdbase8_3step_dirReg
	.p2align	8
	.type	fft_rtc_fwd_len240_factors_4_5_3_4_wgs_240_tpt_20_dim3_sp_ip_CI_sbcc_twdbase8_3step_dirReg,@function
fft_rtc_fwd_len240_factors_4_5_3_4_wgs_240_tpt_20_dim3_sp_ip_CI_sbcc_twdbase8_3step_dirReg: ; @fft_rtc_fwd_len240_factors_4_5_3_4_wgs_240_tpt_20_dim3_sp_ip_CI_sbcc_twdbase8_3step_dirReg
; %bb.0:
	s_load_dwordx4 s[0:3], s[4:5], 0x10
	s_waitcnt lgkmcnt(0)
	s_load_dwordx2 s[12:13], s[0:1], 0x8
	s_waitcnt lgkmcnt(0)
	s_add_u32 s7, s12, -1
	s_addc_u32 s8, s13, -1
	s_add_u32 s9, 0, 0x55540000
	s_addc_u32 s10, 0, 0x55
	s_mul_hi_u32 s14, s9, -12
	s_add_i32 s10, s10, 0x15555500
	s_sub_i32 s14, s14, s9
	s_mul_i32 s16, s10, -12
	s_mul_i32 s11, s9, -12
	s_add_i32 s14, s14, s16
	s_mul_hi_u32 s15, s9, s11
	s_mul_i32 s18, s9, s14
	s_mul_hi_u32 s16, s9, s14
	s_mul_hi_u32 s17, s10, s11
	s_mul_i32 s11, s10, s11
	s_add_u32 s15, s15, s18
	s_addc_u32 s16, 0, s16
	s_mul_hi_u32 s19, s10, s14
	s_add_u32 s11, s15, s11
	s_mul_i32 s14, s10, s14
	s_addc_u32 s11, s16, s17
	s_addc_u32 s15, s19, 0
	s_add_u32 s11, s11, s14
	v_add_co_u32 v1, s9, s9, s11
	s_addc_u32 s11, 0, s15
	s_cmp_lg_u32 s9, 0
	s_addc_u32 s9, s10, s11
	v_readfirstlane_b32 s10, v1
	s_mul_i32 s14, s7, s9
	s_mul_hi_u32 s11, s7, s9
	s_mul_hi_u32 s15, s8, s9
	s_mul_i32 s9, s8, s9
	s_mul_hi_u32 s16, s7, s10
	s_mul_hi_u32 s17, s8, s10
	s_mul_i32 s10, s8, s10
	s_add_u32 s14, s16, s14
	s_addc_u32 s11, 0, s11
	s_add_u32 s10, s14, s10
	s_addc_u32 s10, s11, s17
	s_addc_u32 s11, s15, 0
	s_add_u32 s9, s10, s9
	s_addc_u32 s10, 0, s11
	s_mul_i32 s14, s9, 12
	s_add_u32 s11, s9, 1
	v_sub_co_u32 v1, s7, s7, s14
	s_mul_hi_u32 s14, s9, 12
	s_addc_u32 s15, s10, 0
	s_mul_i32 s16, s10, 12
	v_sub_co_u32 v2, s17, v1, 12
	s_add_u32 s18, s9, 2
	s_addc_u32 s19, s10, 0
	s_add_i32 s14, s14, s16
	s_cmp_lg_u32 s7, 0
	v_readfirstlane_b32 s7, v2
	s_subb_u32 s8, s8, s14
	s_cmp_lg_u32 s17, 0
	s_subb_u32 s14, s8, 0
	s_cmp_gt_u32 s7, 11
	s_cselect_b32 s7, -1, 0
	s_cmp_eq_u32 s14, 0
	v_readfirstlane_b32 s14, v1
	s_cselect_b32 s7, s7, -1
	s_cmp_lg_u32 s7, 0
	s_cselect_b32 s11, s18, s11
	s_cselect_b32 s15, s19, s15
	s_cmp_gt_u32 s14, 11
	s_mov_b64 s[18:19], 0
	s_cselect_b32 s7, -1, 0
	s_cmp_eq_u32 s8, 0
	s_cselect_b32 s7, s7, -1
	s_cmp_lg_u32 s7, 0
	s_mov_b32 s7, 0
	s_cselect_b32 s8, s11, s9
	s_cselect_b32 s9, s15, s10
	s_add_u32 s14, s8, 1
	s_addc_u32 s15, s9, 0
	v_cmp_lt_u64_e64 s8, s[6:7], s[14:15]
	s_and_b32 vcc_lo, exec_lo, s8
	s_cbranch_vccnz .LBB0_2
; %bb.1:
	v_cvt_f32_u32_e32 v1, s14
	s_sub_i32 s9, 0, s14
	s_mov_b32 s19, s7
	v_rcp_iflag_f32_e32 v1, v1
	v_mul_f32_e32 v1, 0x4f7ffffe, v1
	v_cvt_u32_f32_e32 v1, v1
	v_readfirstlane_b32 s8, v1
	s_mul_i32 s9, s9, s8
	s_mul_hi_u32 s9, s8, s9
	s_add_i32 s8, s8, s9
	s_mul_hi_u32 s8, s6, s8
	s_mul_i32 s9, s8, s14
	s_add_i32 s10, s8, 1
	s_sub_i32 s9, s6, s9
	s_sub_i32 s11, s9, s14
	s_cmp_ge_u32 s9, s14
	s_cselect_b32 s8, s10, s8
	s_cselect_b32 s9, s11, s9
	s_add_i32 s10, s8, 1
	s_cmp_ge_u32 s9, s14
	s_cselect_b32 s18, s10, s8
.LBB0_2:
	s_load_dwordx2 s[22:23], s[0:1], 0x10
	s_load_dwordx2 s[8:9], s[2:3], 0x8
	s_mov_b64 s[16:17], s[18:19]
	s_waitcnt lgkmcnt(0)
	v_cmp_lt_u64_e64 s0, s[18:19], s[22:23]
	s_and_b32 vcc_lo, exec_lo, s0
	s_cbranch_vccnz .LBB0_4
; %bb.3:
	v_cvt_f32_u32_e32 v1, s22
	s_sub_i32 s1, 0, s22
	v_rcp_iflag_f32_e32 v1, v1
	v_mul_f32_e32 v1, 0x4f7ffffe, v1
	v_cvt_u32_f32_e32 v1, v1
	v_readfirstlane_b32 s0, v1
	s_mul_i32 s1, s1, s0
	s_mul_hi_u32 s1, s0, s1
	s_add_i32 s0, s0, s1
	s_mul_hi_u32 s0, s18, s0
	s_mul_i32 s0, s0, s22
	s_sub_i32 s0, s18, s0
	s_sub_i32 s1, s0, s22
	s_cmp_ge_u32 s0, s22
	s_cselect_b32 s0, s1, s0
	s_sub_i32 s1, s0, s22
	s_cmp_ge_u32 s0, s22
	s_cselect_b32 s16, s1, s0
.LBB0_4:
	s_load_dwordx2 s[10:11], s[4:5], 0x50
	s_clause 0x1
	s_load_dwordx2 s[0:1], s[2:3], 0x0
	s_load_dwordx2 s[20:21], s[2:3], 0x10
	s_mul_i32 s17, s22, s15
	s_mul_hi_u32 s19, s22, s14
	s_mul_i32 s24, s22, s14
	s_add_i32 s17, s19, s17
	s_mul_i32 s19, s23, s14
	s_mov_b64 s[22:23], 0
	s_add_i32 s25, s17, s19
	v_cmp_lt_u64_e64 s7, s[6:7], s[24:25]
	s_and_b32 vcc_lo, exec_lo, s7
	s_cbranch_vccnz .LBB0_6
; %bb.5:
	v_cvt_f32_u32_e32 v1, s24
	s_sub_i32 s17, 0, s24
	v_rcp_iflag_f32_e32 v1, v1
	v_mul_f32_e32 v1, 0x4f7ffffe, v1
	v_cvt_u32_f32_e32 v1, v1
	v_readfirstlane_b32 s7, v1
	s_mul_i32 s17, s17, s7
	s_mul_hi_u32 s17, s7, s17
	s_add_i32 s7, s7, s17
	s_mul_hi_u32 s7, s6, s7
	s_mul_i32 s17, s7, s24
	s_add_i32 s19, s7, 1
	s_sub_i32 s17, s6, s17
	s_sub_i32 s22, s17, s24
	s_cmp_ge_u32 s17, s24
	s_cselect_b32 s7, s19, s7
	s_cselect_b32 s17, s22, s17
	s_add_i32 s19, s7, 1
	s_cmp_ge_u32 s17, s24
	s_cselect_b32 s22, s19, s7
.LBB0_6:
	s_load_dwordx2 s[2:3], s[2:3], 0x18
	s_mul_i32 s7, s18, s15
	s_mul_hi_u32 s15, s18, s14
	v_mul_u32_u24_e32 v1, 0x1556, v0
	s_mul_i32 s14, s18, s14
	s_add_i32 s15, s15, s7
	s_sub_u32 s6, s6, s14
	s_subb_u32 s7, 0, s15
	v_lshrrev_b32_e32 v44, 16, v1
	s_mul_i32 s7, s7, 12
	s_mul_hi_u32 s14, s6, 12
	s_mul_i32 s15, s6, 12
	s_add_i32 s14, s14, s7
	s_mul_hi_u32 s7, s8, s15
	s_mul_i32 s6, s8, s14
	v_mul_lo_u16 v1, v44, 12
	s_add_i32 s6, s7, s6
	s_mul_i32 s7, s9, s15
	s_waitcnt lgkmcnt(0)
	s_mul_hi_u32 s17, s20, s16
	s_add_i32 s6, s6, s7
	s_mul_i32 s7, s21, s16
	v_sub_nc_u16 v47, v0, v1
	s_mul_i32 s18, s8, s15
	s_add_i32 s17, s17, s7
	s_mul_i32 s7, s20, s16
	s_mul_i32 s3, s3, s22
	s_mul_hi_u32 s16, s2, s22
	s_add_u32 s7, s7, s18
	s_mul_i32 s2, s2, s22
	s_addc_u32 s6, s17, s6
	s_add_i32 s16, s16, s3
	s_add_u32 s2, s2, s7
	v_and_b32_e32 v41, 0xffff, v47
	s_addc_u32 s3, s16, s6
	s_add_u32 s6, s15, 12
	s_addc_u32 s7, s14, 0
	v_cmp_gt_u64_e64 s16, s[6:7], s[12:13]
	v_add_co_u32 v33, s15, s15, v41
	v_add_co_ci_u32_e64 v34, null, s14, 0, s15
	v_cmp_le_u64_e64 s14, s[6:7], s[12:13]
	s_and_b32 vcc_lo, exec_lo, s16
	s_cbranch_vccz .LBB0_12
; %bb.7:
	s_mov_b32 s6, exec_lo
                                        ; implicit-def: $vgpr42
                                        ; implicit-def: $vgpr43
	v_cmpx_le_u64_e64 s[12:13], v[33:34]
	s_xor_b32 s6, exec_lo, s6
; %bb.8:
	v_add_nc_u32_e32 v42, 20, v44
	v_add_nc_u32_e32 v43, 40, v44
; %bb.9:
	s_or_saveexec_b32 s6, s6
                                        ; implicit-def: $vgpr1
                                        ; implicit-def: $vgpr17
                                        ; implicit-def: $vgpr15
                                        ; implicit-def: $vgpr13
                                        ; implicit-def: $vgpr9
                                        ; implicit-def: $vgpr11
                                        ; implicit-def: $vgpr23
                                        ; implicit-def: $vgpr19
                                        ; implicit-def: $vgpr21
                                        ; implicit-def: $vgpr7
                                        ; implicit-def: $vgpr3
                                        ; implicit-def: $vgpr5
	s_xor_b32 exec_lo, exec_lo, s6
	s_cbranch_execz .LBB0_11
; %bb.10:
	v_mad_u64_u32 v[1:2], null, s8, v41, 0
	v_mad_u64_u32 v[3:4], null, s0, v44, 0
	v_add_nc_u32_e32 v11, 60, v44
	v_add_nc_u32_e32 v12, 0x78, v44
	;; [unrolled: 1-line block ×3, first 2 shown]
	s_lshl_b64 s[16:17], s[2:3], 3
	v_add_nc_u32_e32 v42, 20, v44
	s_add_u32 s7, s10, s16
	v_mad_u64_u32 v[5:6], null, s9, v41, v[2:3]
	v_mad_u64_u32 v[9:10], null, s0, v12, 0
	s_addc_u32 s15, s11, s17
	v_add_nc_u32_e32 v18, 0x50, v44
	v_add_nc_u32_e32 v20, 0x8c, v44
	;; [unrolled: 1-line block ×3, first 2 shown]
	v_mad_u64_u32 v[6:7], null, s1, v44, v[4:5]
	v_mad_u64_u32 v[7:8], null, s0, v11, 0
	v_mov_b32_e32 v2, v5
	v_mad_u64_u32 v[16:17], null, s0, v20, 0
	v_add_nc_u32_e32 v43, 40, v44
	v_mov_b32_e32 v4, v6
	v_mov_b32_e32 v6, v10
	;; [unrolled: 1-line block ×3, first 2 shown]
	v_lshlrev_b64 v[1:2], 3, v[1:2]
	v_add_nc_u32_e32 v25, 0x64, v44
	v_lshlrev_b64 v[3:4], 3, v[3:4]
	v_or_b32_e32 v30, 0xa0, v44
	v_mad_u64_u32 v[10:11], null, s1, v11, v[5:6]
	v_mad_u64_u32 v[5:6], null, s1, v12, v[6:7]
	;; [unrolled: 1-line block ×3, first 2 shown]
	v_add_co_u32 v32, vcc_lo, s7, v1
	v_add_co_ci_u32_e32 v36, vcc_lo, s15, v2, vcc_lo
	v_mov_b32_e32 v8, v10
	v_add_co_u32 v1, vcc_lo, v32, v3
	v_add_co_ci_u32_e32 v2, vcc_lo, v36, v4, vcc_lo
	v_mov_b32_e32 v10, v5
	v_lshlrev_b64 v[4:5], 3, v[7:8]
	v_mov_b32_e32 v3, v12
	v_add_nc_u32_e32 v31, 0xdc, v44
	v_mad_u64_u32 v[6:7], null, s1, v13, v[3:4]
	v_lshlrev_b64 v[7:8], 3, v[9:10]
	v_mad_u64_u32 v[9:10], null, s0, v42, 0
	v_add_co_u32 v3, vcc_lo, v32, v4
	v_add_co_ci_u32_e32 v4, vcc_lo, v36, v5, vcc_lo
	v_mov_b32_e32 v12, v6
	v_add_co_u32 v7, vcc_lo, v32, v7
	v_mov_b32_e32 v5, v10
	v_add_co_ci_u32_e32 v8, vcc_lo, v36, v8, vcc_lo
	v_lshlrev_b64 v[10:11], 3, v[11:12]
	v_mad_u64_u32 v[12:13], null, s0, v18, 0
	v_mad_u64_u32 v[5:6], null, s1, v42, v[5:6]
	v_add_co_u32 v14, vcc_lo, v32, v10
	v_add_co_ci_u32_e32 v15, vcc_lo, v36, v11, vcc_lo
	v_mov_b32_e32 v6, v13
	v_mov_b32_e32 v11, v17
	;; [unrolled: 1-line block ×3, first 2 shown]
	v_mad_u64_u32 v[18:19], null, s1, v18, v[6:7]
	s_clause 0x3
	global_load_dwordx2 v[5:6], v[1:2], off
	global_load_dwordx2 v[3:4], v[3:4], off
	;; [unrolled: 1-line block ×4, first 2 shown]
	v_mad_u64_u32 v[14:15], null, s1, v20, v[11:12]
	v_lshlrev_b64 v[9:10], 3, v[9:10]
	v_mov_b32_e32 v13, v18
	v_mad_u64_u32 v[18:19], null, s0, v21, 0
	v_mov_b32_e32 v17, v14
	v_mad_u64_u32 v[14:15], null, s0, v43, 0
	v_lshlrev_b64 v[11:12], 3, v[12:13]
	v_add_co_u32 v9, vcc_lo, v32, v9
	v_mov_b32_e32 v13, v19
	v_add_co_ci_u32_e32 v10, vcc_lo, v36, v10, vcc_lo
	v_add_co_u32 v11, vcc_lo, v32, v11
	v_mad_u64_u32 v[19:20], null, s1, v21, v[13:14]
	v_mad_u64_u32 v[20:21], null, s0, v25, 0
	v_mov_b32_e32 v13, v15
	v_lshlrev_b64 v[15:16], 3, v[16:17]
	v_add_co_ci_u32_e32 v12, vcc_lo, v36, v12, vcc_lo
	v_mad_u64_u32 v[22:23], null, s1, v43, v[13:14]
	v_mov_b32_e32 v13, v21
	v_mad_u64_u32 v[23:24], null, s0, v30, 0
	v_add_co_u32 v28, vcc_lo, v32, v15
	v_mad_u64_u32 v[25:26], null, s1, v25, v[13:14]
	v_mad_u64_u32 v[26:27], null, s0, v31, 0
	v_mov_b32_e32 v13, v24
	v_mov_b32_e32 v15, v22
	v_add_co_ci_u32_e32 v29, vcc_lo, v36, v16, vcc_lo
	v_lshlrev_b64 v[16:17], 3, v[18:19]
	v_mad_u64_u32 v[18:19], null, s1, v30, v[13:14]
	v_lshlrev_b64 v[14:15], 3, v[14:15]
	v_mov_b32_e32 v13, v27
	v_mov_b32_e32 v21, v25
	v_add_co_u32 v16, vcc_lo, v32, v16
	v_add_co_ci_u32_e32 v17, vcc_lo, v36, v17, vcc_lo
	v_mad_u64_u32 v[30:31], null, s1, v31, v[13:14]
	v_mov_b32_e32 v24, v18
	v_lshlrev_b64 v[19:20], 3, v[20:21]
	v_add_co_u32 v13, vcc_lo, v32, v14
	v_add_co_ci_u32_e32 v14, vcc_lo, v36, v15, vcc_lo
	v_mov_b32_e32 v27, v30
	v_lshlrev_b64 v[21:22], 3, v[23:24]
	v_add_co_u32 v30, vcc_lo, v32, v19
	v_add_co_ci_u32_e32 v31, vcc_lo, v36, v20, vcc_lo
	v_lshlrev_b64 v[18:19], 3, v[26:27]
	v_add_co_u32 v25, vcc_lo, v32, v21
	v_add_co_ci_u32_e32 v26, vcc_lo, v36, v22, vcc_lo
	v_add_co_u32 v35, vcc_lo, v32, v18
	v_add_co_ci_u32_e32 v36, vcc_lo, v36, v19, vcc_lo
	s_clause 0x7
	global_load_dwordx2 v[21:22], v[9:10], off
	global_load_dwordx2 v[19:20], v[11:12], off
	;; [unrolled: 1-line block ×8, first 2 shown]
.LBB0_11:
	s_or_b32 exec_lo, exec_lo, s6
	s_load_dwordx2 s[6:7], s[4:5], 0x0
	v_add_nc_u32_e32 v48, 60, v44
	s_cbranch_execz .LBB0_13
	s_branch .LBB0_14
.LBB0_12:
                                        ; implicit-def: $vgpr1
                                        ; implicit-def: $vgpr17
                                        ; implicit-def: $vgpr15
                                        ; implicit-def: $vgpr13
                                        ; implicit-def: $vgpr9
                                        ; implicit-def: $vgpr11
                                        ; implicit-def: $vgpr23
                                        ; implicit-def: $vgpr19
                                        ; implicit-def: $vgpr21
                                        ; implicit-def: $vgpr7
                                        ; implicit-def: $vgpr3
                                        ; implicit-def: $vgpr5
                                        ; implicit-def: $vgpr42
                                        ; implicit-def: $vgpr43
	s_load_dwordx2 s[6:7], s[4:5], 0x0
	v_add_nc_u32_e32 v48, 60, v44
.LBB0_13:
	s_waitcnt vmcnt(8)
	v_mad_u64_u32 v[1:2], null, s8, v41, 0
	v_mad_u64_u32 v[3:4], null, s0, v44, 0
	s_waitcnt vmcnt(1)
	v_add_nc_u32_e32 v13, 0x78, v44
	v_mad_u64_u32 v[5:6], null, s0, v48, 0
	s_waitcnt vmcnt(0)
	v_add_nc_u32_e32 v15, 0xb4, v44
	s_lshl_b64 s[16:17], s[2:3], 3
	v_add_nc_u32_e32 v42, 20, v44
	v_mad_u64_u32 v[7:8], null, s9, v41, v[2:3]
	v_mad_u64_u32 v[8:9], null, s0, v13, 0
	;; [unrolled: 1-line block ×3, first 2 shown]
	s_add_u32 s15, s10, s16
	s_addc_u32 s16, s11, s17
	v_mov_b32_e32 v2, v7
	v_mad_u64_u32 v[11:12], null, s0, v15, 0
	v_mov_b32_e32 v7, v9
	v_mov_b32_e32 v4, v10
	v_lshlrev_b64 v[1:2], 3, v[1:2]
	v_add_nc_u32_e32 v18, 0x50, v44
	v_add_nc_u32_e32 v20, 0x8c, v44
	v_mad_u64_u32 v[9:10], null, s1, v48, v[6:7]
	v_lshlrev_b64 v[3:4], 3, v[3:4]
	v_add_co_u32 v32, vcc_lo, s15, v1
	v_add_co_ci_u32_e32 v36, vcc_lo, s16, v2, vcc_lo
	v_mad_u64_u32 v[13:14], null, s1, v13, v[7:8]
	v_mov_b32_e32 v6, v9
	v_add_co_u32 v1, vcc_lo, v32, v3
	v_add_co_ci_u32_e32 v2, vcc_lo, v36, v4, vcc_lo
	v_lshlrev_b64 v[4:5], 3, v[5:6]
	v_mov_b32_e32 v3, v12
	v_mov_b32_e32 v9, v13
	v_mad_u64_u32 v[16:17], null, s0, v20, 0
	v_add_nc_u32_e32 v21, 0xc8, v44
	v_mad_u64_u32 v[6:7], null, s1, v15, v[3:4]
	v_lshlrev_b64 v[7:8], 3, v[8:9]
	v_mad_u64_u32 v[9:10], null, s0, v42, 0
	v_add_co_u32 v3, vcc_lo, v32, v4
	v_add_co_ci_u32_e32 v4, vcc_lo, v36, v5, vcc_lo
	v_mov_b32_e32 v12, v6
	v_add_co_u32 v7, vcc_lo, v32, v7
	v_mov_b32_e32 v5, v10
	v_add_co_ci_u32_e32 v8, vcc_lo, v36, v8, vcc_lo
	v_lshlrev_b64 v[10:11], 3, v[11:12]
	v_mad_u64_u32 v[12:13], null, s0, v18, 0
	v_mad_u64_u32 v[5:6], null, s1, v42, v[5:6]
	v_add_nc_u32_e32 v43, 40, v44
	v_add_co_u32 v14, vcc_lo, v32, v10
	v_add_co_ci_u32_e32 v15, vcc_lo, v36, v11, vcc_lo
	v_mov_b32_e32 v6, v13
	v_mov_b32_e32 v11, v17
	;; [unrolled: 1-line block ×3, first 2 shown]
	v_add_nc_u32_e32 v25, 0x64, v44
	v_or_b32_e32 v30, 0xa0, v44
	v_mad_u64_u32 v[18:19], null, s1, v18, v[6:7]
	s_clause 0x3
	global_load_dwordx2 v[5:6], v[1:2], off
	global_load_dwordx2 v[3:4], v[3:4], off
	;; [unrolled: 1-line block ×4, first 2 shown]
	v_mad_u64_u32 v[14:15], null, s1, v20, v[11:12]
	v_lshlrev_b64 v[9:10], 3, v[9:10]
	v_add_nc_u32_e32 v31, 0xdc, v44
	v_mov_b32_e32 v13, v18
	v_mad_u64_u32 v[18:19], null, s0, v21, 0
	v_mov_b32_e32 v17, v14
	v_mad_u64_u32 v[14:15], null, s0, v43, 0
	v_lshlrev_b64 v[11:12], 3, v[12:13]
	v_add_co_u32 v9, vcc_lo, v32, v9
	v_mov_b32_e32 v13, v19
	v_add_co_ci_u32_e32 v10, vcc_lo, v36, v10, vcc_lo
	v_add_co_u32 v11, vcc_lo, v32, v11
	v_mad_u64_u32 v[19:20], null, s1, v21, v[13:14]
	v_mad_u64_u32 v[20:21], null, s0, v25, 0
	v_mov_b32_e32 v13, v15
	v_lshlrev_b64 v[15:16], 3, v[16:17]
	v_add_co_ci_u32_e32 v12, vcc_lo, v36, v12, vcc_lo
	v_mad_u64_u32 v[22:23], null, s1, v43, v[13:14]
	v_mov_b32_e32 v13, v21
	v_mad_u64_u32 v[23:24], null, s0, v30, 0
	v_add_co_u32 v28, vcc_lo, v32, v15
	v_mad_u64_u32 v[25:26], null, s1, v25, v[13:14]
	v_mad_u64_u32 v[26:27], null, s0, v31, 0
	v_mov_b32_e32 v13, v24
	v_mov_b32_e32 v15, v22
	v_add_co_ci_u32_e32 v29, vcc_lo, v36, v16, vcc_lo
	v_lshlrev_b64 v[16:17], 3, v[18:19]
	v_mad_u64_u32 v[18:19], null, s1, v30, v[13:14]
	v_lshlrev_b64 v[14:15], 3, v[14:15]
	v_mov_b32_e32 v13, v27
	v_mov_b32_e32 v21, v25
	v_add_co_u32 v16, vcc_lo, v32, v16
	v_add_co_ci_u32_e32 v17, vcc_lo, v36, v17, vcc_lo
	v_mad_u64_u32 v[30:31], null, s1, v31, v[13:14]
	v_mov_b32_e32 v24, v18
	v_lshlrev_b64 v[19:20], 3, v[20:21]
	v_add_co_u32 v13, vcc_lo, v32, v14
	v_add_co_ci_u32_e32 v14, vcc_lo, v36, v15, vcc_lo
	v_mov_b32_e32 v27, v30
	v_lshlrev_b64 v[21:22], 3, v[23:24]
	v_add_co_u32 v30, vcc_lo, v32, v19
	v_add_co_ci_u32_e32 v31, vcc_lo, v36, v20, vcc_lo
	v_lshlrev_b64 v[18:19], 3, v[26:27]
	v_add_co_u32 v25, vcc_lo, v32, v21
	v_add_co_ci_u32_e32 v26, vcc_lo, v36, v22, vcc_lo
	v_add_co_u32 v35, vcc_lo, v32, v18
	v_add_co_ci_u32_e32 v36, vcc_lo, v36, v19, vcc_lo
	s_clause 0x7
	global_load_dwordx2 v[21:22], v[9:10], off
	global_load_dwordx2 v[19:20], v[11:12], off
	global_load_dwordx2 v[23:24], v[28:29], off
	global_load_dwordx2 v[17:18], v[16:17], off
	global_load_dwordx2 v[11:12], v[13:14], off
	global_load_dwordx2 v[9:10], v[30:31], off
	global_load_dwordx2 v[13:14], v[25:26], off
	global_load_dwordx2 v[15:16], v[35:36], off
.LBB0_14:
	s_waitcnt vmcnt(9)
	v_sub_f32_e32 v25, v5, v7
	s_waitcnt vmcnt(8)
	v_sub_f32_e32 v1, v3, v1
	v_sub_f32_e32 v2, v4, v2
	;; [unrolled: 1-line block ×3, first 2 shown]
	s_waitcnt vmcnt(5)
	v_sub_f32_e32 v23, v21, v23
	v_fma_f32 v7, v5, 2.0, -v25
	v_fma_f32 v3, v3, 2.0, -v1
	v_fma_f32 v5, v4, 2.0, -v2
	v_fma_f32 v26, v6, 2.0, -v8
	v_fma_f32 v28, v21, 2.0, -v23
	v_sub_f32_e32 v24, v22, v24
	v_sub_f32_e32 v4, v7, v3
	s_waitcnt vmcnt(4)
	v_sub_f32_e32 v3, v19, v17
	v_sub_f32_e32 v27, v20, v18
	;; [unrolled: 1-line block ×3, first 2 shown]
	v_add_f32_e32 v18, v8, v1
	v_fma_f32 v6, v7, 2.0, -v4
	v_fma_f32 v7, v19, 2.0, -v3
	v_sub_f32_e32 v17, v25, v2
	v_fma_f32 v1, v22, 2.0, -v24
	v_fma_f32 v2, v20, 2.0, -v27
	;; [unrolled: 1-line block ×3, first 2 shown]
	v_sub_f32_e32 v19, v28, v7
	v_fma_f32 v7, v26, 2.0, -v5
	s_waitcnt vmcnt(1)
	v_sub_f32_e32 v26, v12, v14
	v_fma_f32 v21, v25, 2.0, -v17
	v_sub_f32_e32 v20, v1, v2
	v_fma_f32 v8, v28, 2.0, -v19
	s_waitcnt vmcnt(0)
	v_sub_f32_e32 v28, v10, v16
	v_sub_f32_e32 v25, v11, v13
	;; [unrolled: 1-line block ×3, first 2 shown]
	v_fma_f32 v12, v12, 2.0, -v26
	v_sub_f32_e32 v13, v23, v27
	v_fma_f32 v16, v10, 2.0, -v28
	v_fma_f32 v15, v11, 2.0, -v25
	;; [unrolled: 1-line block ×3, first 2 shown]
	v_add_f32_e32 v14, v24, v3
	v_fma_f32 v9, v1, 2.0, -v20
	v_mul_u32_u24_e32 v1, 48, v44
	v_mov_b32_e32 v3, 3
	v_sub_f32_e32 v36, v12, v16
	v_fma_f32 v10, v23, 2.0, -v13
	v_sub_f32_e32 v35, v15, v11
	v_lshlrev_b32_e32 v23, 3, v1
	v_lshlrev_b32_sdwa v50, v3, v47 dst_sel:DWORD dst_unused:UNUSED_PAD src0_sel:DWORD src1_sel:WORD_0
	v_fma_f32 v16, v12, 2.0, -v36
	v_mul_i32_i24_e32 v12, 48, v42
	v_fma_f32 v11, v24, 2.0, -v14
	v_mul_i32_i24_e32 v24, 48, v43
	v_add3_u32 v27, 0, v23, v50
	v_sub_f32_e32 v1, v25, v28
	v_lshlrev_b32_e32 v12, 3, v12
	v_add_f32_e32 v2, v26, v2
	v_lshl_add_u32 v3, v24, 3, 0
	v_mad_i32_i24 v46, 0xfffffee0, v44, v27
	v_fma_f32 v15, v15, 2.0, -v35
	v_add3_u32 v12, 0, v12, v50
	v_fma_f32 v23, v25, 2.0, -v1
	v_fma_f32 v24, v26, 2.0, -v2
	v_add_nc_u32_e32 v25, v3, v50
	ds_write2_b64 v27, v[6:7], v[21:22] offset1:12
	ds_write2_b64 v27, v[4:5], v[17:18] offset0:24 offset1:36
	ds_write2_b64 v12, v[8:9], v[10:11] offset1:12
	ds_write2_b64 v12, v[19:20], v[13:14] offset0:24 offset1:36
	ds_write2_b64 v25, v[15:16], v[23:24] offset1:12
	v_add_nc_u32_e32 v4, 0x2400, v46
	v_add_nc_u32_e32 v5, 0x3600, v46
	;; [unrolled: 1-line block ×3, first 2 shown]
	v_mad_i32_i24 v45, 0xfffffee0, v42, v12
	ds_write2_b64 v25, v[35:36], v[1:2] offset0:24 offset1:36
	s_waitcnt lgkmcnt(0)
	s_barrier
	buffer_gl0_inv
	ds_read2st64_b64 v[17:20], v46 offset1:9
	ds_read2_b64 v[29:32], v4 offset1:240
	ds_read2_b64 v[25:28], v5 offset1:240
	;; [unrolled: 1-line block ×3, first 2 shown]
	ds_read_b64 v[37:38], v45
	ds_read_b64 v[39:40], v46 offset:6528
	v_cmp_gt_u32_e32 vcc_lo, 0x60, v0
                                        ; kill: def $vgpr4 killed $sgpr0 killed $exec
                                        ; implicit-def: $vgpr8
	s_and_saveexec_b32 s15, vcc_lo
	s_cbranch_execz .LBB0_16
; %bb.15:
	v_mul_i32_i24_e32 v1, 0xfffffee0, v43
	v_add_nc_u32_e32 v5, 0x100, v46
	v_add3_u32 v6, v3, v1, v50
	ds_read2st64_b64 v[1:4], v5 offset0:16 offset1:25
	ds_read_b64 v[35:36], v6
	ds_read2st64_b64 v[5:8], v5 offset0:34 offset1:43
.LBB0_16:
	s_or_b32 exec_lo, exec_lo, s15
	v_and_b32_e32 v49, 3, v44
	v_lshrrev_b32_e32 v51, 2, v42
	v_lshrrev_b32_e32 v52, 2, v44
	v_lshlrev_b32_e32 v9, 5, v49
	v_mul_lo_u32 v51, v51, 20
	v_mul_u32_u24_e32 v52, 20, v52
	s_clause 0x1
	global_load_dwordx4 v[13:16], v9, s[6:7]
	global_load_dwordx4 v[9:12], v9, s[6:7] offset:16
	s_waitcnt vmcnt(0) lgkmcnt(0)
	v_or_b32_e32 v52, v52, v49
	s_barrier
	v_or_b32_e32 v51, v51, v49
	buffer_gl0_inv
	v_mul_u32_u24_e32 v52, 0x60, v52
	v_mul_lo_u32 v51, 0x60, v51
	v_add3_u32 v52, 0, v52, v50
	v_add3_u32 v50, 0, v51, v50
	v_mul_f32_e32 v51, v14, v20
	v_mul_f32_e32 v53, v14, v19
	;; [unrolled: 1-line block ×16, first 2 shown]
	v_fma_f32 v19, v13, v19, -v51
	v_fmac_f32_e32 v53, v13, v20
	v_fma_f32 v29, v15, v29, -v54
	v_fmac_f32_e32 v55, v15, v30
	;; [unrolled: 2-line block ×4, first 2 shown]
	v_fma_f32 v20, v13, v39, -v60
	v_fma_f32 v21, v15, v31, -v62
	v_fmac_f32_e32 v63, v15, v32
	v_fma_f32 v27, v9, v27, -v64
	v_fmac_f32_e32 v65, v9, v28
	v_fmac_f32_e32 v61, v13, v40
	v_fma_f32 v39, v11, v23, -v66
	v_fmac_f32_e32 v67, v11, v24
	v_add_f32_e32 v22, v17, v19
	v_add_f32_e32 v23, v29, v25
	v_sub_f32_e32 v24, v19, v29
	v_sub_f32_e32 v26, v51, v25
	v_add_f32_e32 v54, v18, v53
	v_add_f32_e32 v56, v55, v57
	;; [unrolled: 1-line block ×7, first 2 shown]
	v_sub_f32_e32 v30, v29, v19
	v_sub_f32_e32 v31, v25, v51
	v_add_f32_e32 v75, v20, v39
	v_add_f32_e32 v78, v38, v61
	;; [unrolled: 1-line block ×3, first 2 shown]
	v_sub_f32_e32 v32, v53, v59
	v_sub_f32_e32 v58, v19, v51
	;; [unrolled: 1-line block ×5, first 2 shown]
	v_fma_f32 v19, -0.5, v23, v17
	v_fma_f32 v20, -0.5, v56, v18
	v_add_f32_e32 v23, v22, v29
	v_add_f32_e32 v56, v24, v26
	;; [unrolled: 1-line block ×3, first 2 shown]
	v_sub_f32_e32 v40, v55, v57
	v_sub_f32_e32 v60, v29, v25
	v_fma_f32 v17, -0.5, v28, v17
	v_fma_f32 v18, -0.5, v66, v18
	v_sub_f32_e32 v62, v53, v55
	v_sub_f32_e32 v64, v59, v57
	;; [unrolled: 1-line block ×4, first 2 shown]
	v_add_f32_e32 v28, v69, v21
	v_fma_f32 v21, -0.5, v70, v37
	v_fma_f32 v22, -0.5, v79, v38
	v_sub_f32_e32 v72, v63, v65
	v_add_f32_e32 v66, v30, v31
	v_fma_f32 v37, -0.5, v75, v37
	v_add_f32_e32 v30, v78, v63
	v_fmac_f32_e32 v38, -0.5, v84
	v_sub_f32_e32 v68, v57, v59
	v_add_f32_e32 v31, v23, v25
	v_fmamk_f32 v23, v32, 0x3f737871, v19
	v_add_f32_e32 v57, v24, v57
	v_fmamk_f32 v24, v58, 0xbf737871, v20
	v_sub_f32_e32 v53, v55, v53
	v_fmamk_f32 v25, v40, 0xbf737871, v17
	v_fmac_f32_e32 v17, 0x3f737871, v40
	v_fmamk_f32 v26, v60, 0x3f737871, v18
	v_fmac_f32_e32 v18, 0xbf737871, v60
	v_fmac_f32_e32 v19, 0xbf737871, v32
	;; [unrolled: 1-line block ×3, first 2 shown]
	v_sub_f32_e32 v74, v39, v27
	v_sub_f32_e32 v77, v27, v39
	;; [unrolled: 1-line block ×4, first 2 shown]
	v_add_f32_e32 v54, v62, v64
	v_add_f32_e32 v64, v28, v27
	v_fmamk_f32 v27, v71, 0x3f737871, v21
	v_fmamk_f32 v28, v80, 0xbf737871, v22
	v_sub_f32_e32 v61, v63, v61
	v_sub_f32_e32 v85, v65, v67
	v_fmamk_f32 v29, v72, 0xbf737871, v37
	v_fmac_f32_e32 v37, 0x3f737871, v72
	v_add_f32_e32 v65, v30, v65
	v_fmamk_f32 v30, v81, 0x3f737871, v38
	v_fmac_f32_e32 v38, 0xbf737871, v81
	v_fmac_f32_e32 v21, 0xbf737871, v71
	;; [unrolled: 1-line block ×5, first 2 shown]
	v_add_f32_e32 v53, v53, v68
	v_fmac_f32_e32 v25, 0x3f167918, v32
	v_fmac_f32_e32 v17, 0xbf167918, v32
	;; [unrolled: 1-line block ×6, first 2 shown]
	v_add_f32_e32 v55, v73, v74
	v_add_f32_e32 v63, v82, v83
	v_fmac_f32_e32 v27, 0x3f167918, v72
	v_fmac_f32_e32 v28, 0xbf167918, v81
	v_add_f32_e32 v62, v76, v77
	v_add_f32_e32 v61, v61, v85
	v_fmac_f32_e32 v29, 0x3f167918, v71
	v_fmac_f32_e32 v37, 0xbf167918, v71
	;; [unrolled: 1-line block ×4, first 2 shown]
	v_add_f32_e32 v31, v31, v51
	v_add_f32_e32 v32, v57, v59
	v_fmac_f32_e32 v21, 0xbf167918, v72
	v_fmac_f32_e32 v22, 0x3f167918, v81
	;; [unrolled: 1-line block ×10, first 2 shown]
	v_add_f32_e32 v39, v64, v39
	v_add_f32_e32 v40, v65, v67
	v_fmac_f32_e32 v27, 0x3e9e377a, v55
	v_fmac_f32_e32 v28, 0x3e9e377a, v63
	;; [unrolled: 1-line block ×8, first 2 shown]
	ds_write2_b64 v52, v[31:32], v[23:24] offset1:48
	ds_write2_b64 v52, v[25:26], v[17:18] offset0:96 offset1:144
	ds_write_b64 v52, v[19:20] offset:1536
	ds_write2_b64 v50, v[39:40], v[27:28] offset1:48
	ds_write2_b64 v50, v[29:30], v[37:38] offset0:96 offset1:144
	ds_write_b64 v50, v[21:22] offset:1536
	s_and_saveexec_b32 s15, vcc_lo
	s_cbranch_execz .LBB0_18
; %bb.17:
	v_mul_f32_e32 v17, v1, v14
	v_mul_f32_e32 v19, v5, v10
	;; [unrolled: 1-line block ×5, first 2 shown]
	v_fmac_f32_e32 v17, v2, v13
	v_mul_f32_e32 v2, v4, v16
	v_fmac_f32_e32 v19, v6, v9
	v_mul_f32_e32 v6, v6, v10
	v_fma_f32 v10, v1, v13, -v14
	v_fmac_f32_e32 v18, v8, v11
	v_fmac_f32_e32 v20, v4, v15
	v_add_f32_e32 v4, v36, v17
	v_fma_f32 v13, v3, v15, -v2
	v_mul_f32_e32 v1, v8, v12
	v_add_f32_e32 v3, v35, v10
	v_add_f32_e32 v2, v17, v18
	v_fma_f32 v9, v5, v9, -v6
	v_add_f32_e32 v5, v4, v20
	v_fma_f32 v7, v7, v11, -v1
	v_add_f32_e32 v1, v3, v13
	v_fma_f32 v2, -0.5, v2, v36
	v_sub_f32_e32 v11, v13, v9
	v_sub_f32_e32 v3, v20, v17
	;; [unrolled: 1-line block ×3, first 2 shown]
	v_add_f32_e32 v5, v5, v19
	v_add_f32_e32 v1, v1, v9
	;; [unrolled: 1-line block ×3, first 2 shown]
	v_sub_f32_e32 v12, v10, v7
	v_fmamk_f32 v4, v11, 0xbf737871, v2
	v_add_f32_e32 v3, v3, v6
	v_fmac_f32_e32 v2, 0x3f737871, v11
	v_add_f32_e32 v6, v5, v18
	v_add_f32_e32 v5, v1, v7
	v_fmac_f32_e32 v36, -0.5, v8
	v_sub_f32_e32 v1, v17, v20
	v_sub_f32_e32 v14, v18, v19
	v_add_f32_e32 v15, v10, v7
	v_fmac_f32_e32 v4, 0x3f167918, v12
	v_fmac_f32_e32 v2, 0xbf167918, v12
	v_fmamk_f32 v8, v12, 0x3f737871, v36
	v_fmac_f32_e32 v36, 0xbf737871, v12
	v_add_f32_e32 v12, v1, v14
	v_fma_f32 v1, -0.5, v15, v35
	v_lshrrev_b32_e32 v15, 2, v43
	v_sub_f32_e32 v17, v17, v18
	v_add_f32_e32 v18, v13, v9
	v_fmac_f32_e32 v8, 0x3f167918, v11
	v_fmac_f32_e32 v36, 0xbf167918, v11
	v_mul_lo_u32 v15, v15, 20
	v_sub_f32_e32 v14, v20, v19
	v_fmac_f32_e32 v35, -0.5, v18
	v_fmac_f32_e32 v8, 0x3e9e377a, v12
	v_fmac_f32_e32 v36, 0x3e9e377a, v12
	v_sub_f32_e32 v11, v13, v10
	v_sub_f32_e32 v16, v9, v7
	;; [unrolled: 1-line block ×3, first 2 shown]
	v_or_b32_e32 v12, v15, v49
	v_sub_f32_e32 v9, v7, v9
	v_fmamk_f32 v7, v17, 0xbf737871, v35
	v_fmac_f32_e32 v35, 0x3f737871, v17
	v_mov_b32_e32 v13, 3
	v_fmac_f32_e32 v4, 0x3e9e377a, v3
	v_fmac_f32_e32 v2, 0x3e9e377a, v3
	v_fmamk_f32 v3, v14, 0x3f737871, v1
	v_fmac_f32_e32 v1, 0xbf737871, v14
	v_mul_lo_u32 v12, 0x60, v12
	v_add_f32_e32 v9, v10, v9
	v_fmac_f32_e32 v35, 0x3f167918, v14
	v_lshlrev_b32_sdwa v10, v13, v47 dst_sel:DWORD dst_unused:UNUSED_PAD src0_sel:DWORD src1_sel:WORD_0
	v_add_f32_e32 v11, v11, v16
	v_fmac_f32_e32 v3, 0xbf167918, v17
	v_fmac_f32_e32 v1, 0x3f167918, v17
	;; [unrolled: 1-line block ×4, first 2 shown]
	v_add3_u32 v10, 0, v12, v10
	v_fmac_f32_e32 v3, 0x3e9e377a, v11
	v_fmac_f32_e32 v1, 0x3e9e377a, v11
	;; [unrolled: 1-line block ×3, first 2 shown]
	ds_write2_b64 v10, v[5:6], v[35:36] offset1:48
	ds_write2_b64 v10, v[1:2], v[3:4] offset0:96 offset1:144
	ds_write_b64 v10, v[7:8] offset:1536
.LBB0_18:
	s_or_b32 exec_lo, exec_lo, s15
	v_mul_lo_u16 v1, v44, 13
	v_and_b32_e32 v2, 0xff, v42
	s_waitcnt lgkmcnt(0)
	s_barrier
	buffer_gl0_inv
	v_lshrrev_b16 v14, 8, v1
	v_and_b32_e32 v1, 0xff, v43
	v_mul_lo_u16 v2, 0xcd, v2
	v_add_nc_u32_e32 v20, 0x3480, v46
	v_add_nc_u32_e32 v21, 0x2580, v46
	v_mul_lo_u16 v3, v14, 20
	v_mul_lo_u16 v4, 0xcd, v1
	v_lshrrev_b16 v16, 12, v2
	v_mul_i32_i24_e32 v18, 0x60, v43
	v_add_nc_u32_e32 v22, 0x4380, v46
	v_sub_nc_u16 v2, v44, v3
	v_mul_lo_u16 v3, 0x67, v48
	v_lshrrev_b16 v19, 12, v4
	v_mul_lo_u16 v4, v16, 20
	v_mul_u32_u24_e32 v23, 0x60, v48
	v_and_b32_e32 v32, 0xff, v2
	v_lshrrev_b16 v15, 11, v3
	v_mul_lo_u16 v2, v19, 20
	v_sub_nc_u16 v3, v42, v4
	v_cmp_gt_u64_e32 vcc_lo, s[12:13], v[33:34]
	v_lshlrev_b32_e32 v4, 4, v32
	v_mul_lo_u16 v6, v15, 20
	v_sub_nc_u16 v7, v43, v2
	v_and_b32_e32 v40, 0xff, v3
	v_and_b32_e32 v56, 0xffff, v14
	global_load_dwordx4 v[2:5], v4, s[6:7] offset:128
	v_sub_nc_u16 v6, v48, v6
	v_and_b32_e32 v59, 0xff, v7
	v_lshlrev_b32_e32 v7, 4, v40
	v_and_b32_e32 v57, 0xffff, v15
	v_mad_u32_u24 v32, v56, 60, v32
	v_and_b32_e32 v55, 0xff, v6
	v_lshlrev_b32_e32 v10, 4, v59
	global_load_dwordx4 v[6:9], v7, s[6:7] offset:128
	v_and_b32_e32 v16, 0xffff, v16
	v_and_b32_e32 v19, 0xffff, v19
	v_lshlrev_b32_e32 v17, 4, v55
	v_mad_u32_u24 v61, v57, 60, v55
	v_mul_u32_u24_e32 v32, 0x60, v32
	s_clause 0x1
	global_load_dwordx4 v[10:13], v10, s[6:7] offset:128
	global_load_dwordx4 v[24:27], v17, s[6:7] offset:128
	v_mov_b32_e32 v17, 3
	ds_read2st64_b64 v[28:31], v46 offset1:15
	v_mad_u32_u24 v16, v16, 60, v40
	v_mad_u32_u24 v19, v19, 60, v59
	v_mul_u32_u24_e32 v40, 0x60, v61
	v_lshlrev_b32_sdwa v60, v17, v47 dst_sel:DWORD dst_unused:UNUSED_PAD src0_sel:DWORD src1_sel:WORD_0
	ds_read2_b64 v[34:37], v20 offset1:240
	ds_read2_b64 v[47:50], v21 offset1:240
	;; [unrolled: 1-line block ×3, first 2 shown]
	v_mul_u32_u24_e32 v16, 0x60, v16
	v_mul_u32_u24_e32 v19, 0x60, v19
	s_or_b32 s12, s14, vcc_lo
	v_add3_u32 v18, 0, v18, v60
	v_add3_u32 v23, 0, v23, v60
	;; [unrolled: 1-line block ×3, first 2 shown]
	ds_read_b64 v[14:15], v18
	ds_read_b64 v[38:39], v23
	;; [unrolled: 1-line block ×3, first 2 shown]
	ds_read_b64 v[57:58], v46 offset:21120
	v_add3_u32 v40, 0, v40, v60
	v_add3_u32 v16, 0, v16, v60
	v_add3_u32 v19, 0, v19, v60
	s_waitcnt vmcnt(0) lgkmcnt(0)
	s_barrier
	buffer_gl0_inv
	v_mul_f32_e32 v59, v3, v31
	v_mul_f32_e32 v3, v3, v30
	;; [unrolled: 1-line block ×4, first 2 shown]
	v_fma_f32 v30, v2, v30, -v59
	v_fmac_f32_e32 v3, v2, v31
	v_fma_f32 v2, v4, v36, -v61
	v_fmac_f32_e32 v5, v4, v37
	v_mul_f32_e32 v4, v7, v48
	v_mul_f32_e32 v7, v7, v47
	;; [unrolled: 1-line block ×12, first 2 shown]
	v_fma_f32 v47, v6, v47, -v4
	v_fmac_f32_e32 v7, v6, v48
	v_fma_f32 v31, v8, v51, -v31
	v_fmac_f32_e32 v9, v8, v52
	;; [unrolled: 2-line block ×3, first 2 shown]
	v_add_f32_e32 v4, v28, v30
	v_add_f32_e32 v24, v30, v2
	;; [unrolled: 1-line block ×4, first 2 shown]
	v_fma_f32 v6, v49, v10, -v36
	v_fmac_f32_e32 v11, v50, v10
	v_fma_f32 v10, v53, v12, -v37
	v_fmac_f32_e32 v13, v54, v12
	;; [unrolled: 2-line block ×3, first 2 shown]
	v_sub_f32_e32 v26, v3, v5
	v_sub_f32_e32 v30, v30, v2
	v_add_f32_e32 v2, v4, v2
	v_fma_f32 v4, -0.5, v24, v28
	v_add_f32_e32 v3, v34, v5
	v_fma_f32 v5, -0.5, v35, v29
	v_add_f32_e32 v28, v47, v31
	v_add_f32_e32 v35, v7, v9
	;; [unrolled: 1-line block ×3, first 2 shown]
	v_sub_f32_e32 v36, v47, v31
	v_add_f32_e32 v47, v6, v10
	v_add_f32_e32 v50, v11, v13
	v_add_f32_e32 v53, v8, v12
	v_sub_f32_e32 v54, v25, v27
	v_add_f32_e32 v57, v39, v25
	v_add_f32_e32 v25, v25, v27
	v_sub_f32_e32 v29, v7, v9
	v_add_f32_e32 v34, v56, v7
	v_fma_f32 v55, -0.5, v28, v55
	v_fmac_f32_e32 v56, -0.5, v35
	v_add_f32_e32 v37, v14, v6
	v_sub_f32_e32 v48, v11, v13
	v_add_f32_e32 v49, v15, v11
	v_sub_f32_e32 v51, v6, v10
	v_fma_f32 v14, -0.5, v47, v14
	v_fmac_f32_e32 v15, -0.5, v50
	v_add_f32_e32 v52, v38, v8
	v_sub_f32_e32 v58, v8, v12
	v_fmamk_f32 v6, v26, 0x3f5db3d7, v4
	v_fmamk_f32 v7, v30, 0xbf5db3d7, v5
	v_fma_f32 v38, -0.5, v53, v38
	v_fmac_f32_e32 v39, -0.5, v25
	v_fmac_f32_e32 v4, 0xbf5db3d7, v26
	v_fmac_f32_e32 v5, 0x3f5db3d7, v30
	v_add_f32_e32 v8, v24, v31
	v_add_f32_e32 v9, v34, v9
	v_fmamk_f32 v24, v29, 0x3f5db3d7, v55
	v_fmamk_f32 v25, v36, 0xbf5db3d7, v56
	v_fmac_f32_e32 v55, 0xbf5db3d7, v29
	v_fmac_f32_e32 v56, 0x3f5db3d7, v36
	v_add_f32_e32 v10, v37, v10
	v_add_f32_e32 v11, v49, v13
	;; [unrolled: 1-line block ×3, first 2 shown]
	v_fmamk_f32 v26, v48, 0x3f5db3d7, v14
	v_fmamk_f32 v27, v51, 0xbf5db3d7, v15
	v_add_f32_e32 v12, v52, v12
	v_fmac_f32_e32 v14, 0xbf5db3d7, v48
	v_fmac_f32_e32 v15, 0x3f5db3d7, v51
	v_fmamk_f32 v28, v54, 0x3f5db3d7, v38
	v_fmac_f32_e32 v38, 0xbf5db3d7, v54
	v_fmamk_f32 v29, v58, 0xbf5db3d7, v39
	v_fmac_f32_e32 v39, 0x3f5db3d7, v58
	ds_write2_b64 v32, v[2:3], v[6:7] offset1:240
	ds_write_b64 v32, v[4:5] offset:3840
	ds_write2_b64 v16, v[8:9], v[24:25] offset1:240
	ds_write_b64 v16, v[55:56] offset:3840
	;; [unrolled: 2-line block ×4, first 2 shown]
	s_waitcnt lgkmcnt(0)
	s_barrier
	buffer_gl0_inv
	s_and_saveexec_b32 s13, s12
	s_cbranch_execz .LBB0_20
; %bb.19:
	v_subrev_nc_u32_e32 v2, 40, v44
	v_cmp_gt_u32_e32 vcc_lo, 0x1e0, v0
	v_subrev_nc_u32_e32 v4, 60, v44
	v_mov_b32_e32 v3, 0
	v_mul_lo_u16 v6, 0x89, v1
	s_load_dwordx2 s[4:5], s[4:5], 0x8
	v_cndmask_b32_e32 v27, v2, v42, vcc_lo
	v_cmp_gt_u32_e32 vcc_lo, 0x2d0, v0
	s_lshl_b64 s[2:3], s[2:3], 3
	v_lshrrev_b16 v19, 13, v6
	s_add_u32 s2, s10, s2
	v_mul_i32_i24_e32 v2, 3, v27
	v_cndmask_b32_e32 v24, v4, v44, vcc_lo
	v_mul_lo_u32 v26, v33, v27
	v_add_nc_u32_e32 v29, 0xb4, v27
	v_add_nc_u32_e32 v31, 0x78, v27
	v_lshlrev_b64 v[4:5], 3, v[2:3]
	v_mul_i32_i24_e32 v2, 3, v24
	v_mul_lo_u32 v40, v33, v24
	v_mul_lo_u32 v44, v33, v29
	;; [unrolled: 1-line block ×3, first 2 shown]
	v_bfe_u32 v30, v26, 8, 8
	v_lshlrev_b64 v[1:2], 3, v[2:3]
	v_mul_lo_u16 v3, v19, 60
	v_add_co_u32 v9, vcc_lo, s6, v4
	v_add_co_ci_u32_e32 v10, vcc_lo, s7, v5, vcc_lo
	v_sub_nc_u16 v3, v43, v3
	v_add_co_u32 v1, vcc_lo, s6, v1
	v_add_co_ci_u32_e32 v2, vcc_lo, s7, v2, vcc_lo
	v_and_b32_e32 v25, 0xff, v3
	global_load_dwordx2 v[15:16], v[9:10], off offset:464
	v_lshlrev_b32_sdwa v29, v17, v26 dst_sel:DWORD dst_unused:UNUSED_PAD src0_sel:DWORD src1_sel:BYTE_0
	s_clause 0x1
	global_load_dwordx2 v[13:14], v[1:2], off offset:464
	global_load_dwordx4 v[5:8], v[1:2], off offset:448
	v_mul_u32_u24_e32 v1, 3, v25
	v_bfe_u32 v34, v40, 8, 8
	v_lshl_or_b32 v30, v30, 3, 0x800
	v_add_nc_u32_e32 v27, 60, v27
	v_lshlrev_b32_sdwa v35, v17, v40 dst_sel:DWORD dst_unused:UNUSED_PAD src0_sel:DWORD src1_sel:BYTE_0
	v_lshlrev_b32_e32 v28, 3, v1
	global_load_dwordx4 v[9:12], v[9:10], off offset:448
	v_bfe_u32 v26, v26, 16, 8
	v_mul_lo_u32 v84, v33, v27
	v_lshlrev_b32_sdwa v27, v17, v83 dst_sel:DWORD dst_unused:UNUSED_PAD src0_sel:DWORD src1_sel:BYTE_0
	global_load_dwordx4 v[1:4], v28, s[6:7] offset:448
	s_waitcnt lgkmcnt(0)
	s_clause 0x1
	global_load_dwordx2 v[31:32], v29, s[4:5]
	global_load_dwordx2 v[38:39], v30, s[4:5]
	v_lshl_or_b32 v29, v34, 3, 0x800
	v_bfe_u32 v30, v44, 8, 8
	s_clause 0x1
	global_load_dwordx2 v[51:52], v35, s[4:5]
	global_load_dwordx2 v[53:54], v29, s[4:5]
	v_bfe_u32 v29, v83, 8, 8
	v_lshlrev_b32_sdwa v34, v17, v44 dst_sel:DWORD dst_unused:UNUSED_PAD src0_sel:DWORD src1_sel:BYTE_0
	v_lshl_or_b32 v30, v30, 3, 0x800
	v_lshl_or_b32 v26, v26, 3, 0x1000
	v_cmp_lt_u32_e32 vcc_lo, 0x2cf, v0
	v_lshl_or_b32 v29, v29, 3, 0x800
	s_clause 0x3
	global_load_dwordx2 v[55:56], v34, s[4:5]
	global_load_dwordx2 v[57:58], v30, s[4:5]
	;; [unrolled: 1-line block ×4, first 2 shown]
	v_bfe_u32 v27, v84, 8, 8
	v_lshlrev_b32_sdwa v29, v17, v84 dst_sel:DWORD dst_unused:UNUSED_PAD src0_sel:DWORD src1_sel:BYTE_0
	v_add_nc_u32_e32 v30, 60, v24
	s_addc_u32 s3, s11, s3
	v_lshl_or_b32 v27, v27, 3, 0x800
	s_clause 0x1
	global_load_dwordx2 v[63:64], v29, s[4:5]
	global_load_dwordx2 v[65:66], v27, s[4:5]
	v_add_nc_u32_e32 v27, 0xb4, v24
	v_mul_lo_u32 v87, v33, v30
	v_mul_lo_u32 v85, v33, v27
	v_add_nc_u32_e32 v27, 0x78, v24
	v_mul_lo_u32 v86, v33, v27
	v_bfe_u32 v27, v85, 8, 8
	v_lshlrev_b32_sdwa v29, v17, v85 dst_sel:DWORD dst_unused:UNUSED_PAD src0_sel:DWORD src1_sel:BYTE_0
	v_lshl_or_b32 v27, v27, 3, 0x800
	v_bfe_u32 v34, v86, 8, 8
	s_clause 0x1
	global_load_dwordx2 v[67:68], v29, s[4:5]
	global_load_dwordx2 v[69:70], v27, s[4:5]
	v_lshlrev_b32_sdwa v27, v17, v86 dst_sel:DWORD dst_unused:UNUSED_PAD src0_sel:DWORD src1_sel:BYTE_0
	v_lshl_or_b32 v29, v34, 3, 0x800
	s_clause 0x1
	global_load_dwordx2 v[71:72], v27, s[4:5]
	global_load_dwordx2 v[73:74], v29, s[4:5]
	v_bfe_u32 v27, v87, 8, 8
	v_lshlrev_b32_sdwa v29, v17, v87 dst_sel:DWORD dst_unused:UNUSED_PAD src0_sel:DWORD src1_sel:BYTE_0
	v_lshl_or_b32 v27, v27, 3, 0x800
	s_clause 0x1
	global_load_dwordx2 v[75:76], v29, s[4:5]
	global_load_dwordx2 v[77:78], v27, s[4:5]
	global_load_dwordx2 v[79:80], v28, s[6:7] offset:464
	ds_read2_b64 v[27:30], v22 offset1:240
	ds_read_b64 v[81:82], v23
	ds_read2_b64 v[34:37], v21 offset1:240
	ds_read2_b64 v[20:23], v20 offset1:240
	ds_read2st64_b64 v[47:50], v46 offset1:15
	s_waitcnt vmcnt(21) lgkmcnt(4)
	v_mul_f32_e32 v88, v30, v16
	v_mul_f32_e32 v89, v29, v16
	v_bfe_u32 v16, v40, 16, 8
	v_mul_lo_u32 v40, v33, v25
	s_waitcnt vmcnt(20)
	v_mul_f32_e32 v90, v14, v27
	v_fma_f32 v88, v29, v15, -v88
	v_fmac_f32_e32 v89, v30, v15
	v_mul_f32_e32 v15, v14, v28
	v_bfe_u32 v30, v83, 16, 8
	s_waitcnt vmcnt(19) lgkmcnt(2)
	v_mul_f32_e32 v91, v8, v36
	v_mul_f32_e32 v8, v8, v37
	v_fmac_f32_e32 v90, v13, v28
	v_fma_f32 v83, v13, v27, -v15
	v_bfe_u32 v15, v84, 16, 8
	v_mul_f32_e32 v27, v6, v82
	v_mul_f32_e32 v84, v6, v81
	v_bfe_u32 v13, v40, 8, 8
	v_lshl_or_b32 v16, v16, 3, 0x1000
	v_lshlrev_b32_sdwa v14, v17, v40 dst_sel:DWORD dst_unused:UNUSED_PAD src0_sel:DWORD src1_sel:BYTE_0
	v_fma_f32 v81, v5, v81, -v27
	v_fmac_f32_e32 v84, v5, v82
	v_bfe_u32 v27, v85, 16, 8
	v_fma_f32 v82, v7, v36, -v8
	s_waitcnt vmcnt(17)
	v_mul_f32_e32 v36, v35, v2
	v_mul_f32_e32 v85, v34, v2
	v_lshl_or_b32 v13, v13, 3, 0x800
	v_bfe_u32 v29, v44, 16, 8
	s_clause 0x1
	global_load_dwordx2 v[5:6], v14, s[4:5]
	global_load_dwordx2 v[13:14], v13, s[4:5]
	v_bfe_u32 v28, v86, 16, 8
	v_fmac_f32_e32 v91, v7, v37
	v_add_nc_u32_e32 v44, 0xb4, v25
	global_load_dwordx2 v[7:8], v26, s[4:5]
	v_fma_f32 v86, v34, v1, -v36
	v_fmac_f32_e32 v85, v35, v1
	global_load_dwordx2 v[1:2], v16, s[4:5]
	v_add_nc_u32_e32 v26, 0x78, v25
	v_add_nc_u32_e32 v16, 60, v25
	v_lshl_or_b32 v25, v29, 3, 0x1000
	v_lshl_or_b32 v29, v30, 3, 0x1000
	s_waitcnt lgkmcnt(1)
	v_mul_f32_e32 v93, v22, v4
	v_mul_f32_e32 v4, v23, v4
	v_lshl_or_b32 v30, v15, 3, 0x1000
	v_bfe_u32 v37, v87, 16, 8
	v_mul_lo_u32 v87, v33, v44
	v_mul_lo_u32 v92, v33, v26
	v_lshl_or_b32 v28, v28, 3, 0x1000
	v_mul_f32_e32 v95, v12, v20
	v_mul_f32_e32 v12, v12, v21
	v_lshl_or_b32 v27, v27, 3, 0x1000
	v_mul_lo_u32 v94, v33, v16
	global_load_dwordx2 v[15:16], v29, s[4:5]
	v_fmac_f32_e32 v93, v23, v3
	v_fma_f32 v96, v22, v3, -v4
	s_clause 0x1
	global_load_dwordx2 v[3:4], v25, s[4:5]
	global_load_dwordx2 v[22:23], v30, s[4:5]
	s_waitcnt lgkmcnt(0)
	v_mul_f32_e32 v25, v10, v50
	v_mul_f32_e32 v97, v10, v49
	v_fmac_f32_e32 v95, v11, v21
	v_fma_f32 v12, v11, v20, -v12
	s_clause 0x1
	global_load_dwordx2 v[10:11], v28, s[4:5]
	global_load_dwordx2 v[20:21], v27, s[4:5]
	s_waitcnt vmcnt(24)
	v_mul_f32_e32 v27, v32, v39
	s_waitcnt vmcnt(22)
	v_mul_f32_e32 v29, v52, v54
	v_lshl_or_b32 v34, v37, 3, 0x1000
	v_fma_f32 v98, v9, v49, -v25
	v_fmac_f32_e32 v97, v9, v50
	v_mul_f32_e32 v9, v31, v39
	v_bfe_u32 v28, v87, 8, 8
	v_bfe_u32 v30, v92, 8, 8
	v_fma_f32 v99, v31, v38, -v27
	v_lshlrev_b32_sdwa v27, v17, v87 dst_sel:DWORD dst_unused:UNUSED_PAD src0_sel:DWORD src1_sel:BYTE_0
	v_lshlrev_b32_sdwa v31, v17, v92 dst_sel:DWORD dst_unused:UNUSED_PAD src0_sel:DWORD src1_sel:BYTE_0
	v_fma_f32 v101, v51, v53, -v29
	s_waitcnt vmcnt(20)
	v_mul_f32_e32 v29, v56, v58
	v_mul_f32_e32 v58, v55, v58
	s_waitcnt vmcnt(18)
	v_mul_f32_e32 v33, v60, v62
	global_load_dwordx2 v[25:26], v34, s[4:5]
	v_fmac_f32_e32 v9, v32, v38
	v_lshl_or_b32 v32, v28, 3, 0x800
	v_lshl_or_b32 v34, v30, 3, 0x800
	v_fma_f32 v102, v55, v57, -v29
	v_fmac_f32_e32 v58, v56, v57
	v_mul_f32_e32 v57, v59, v62
	s_clause 0x1
	global_load_dwordx2 v[27:28], v27, s[4:5]
	global_load_dwordx2 v[29:30], v32, s[4:5]
	v_fma_f32 v59, v59, v61, -v33
	s_clause 0x1
	global_load_dwordx2 v[31:32], v31, s[4:5]
	global_load_dwordx2 v[33:34], v34, s[4:5]
	ds_read_b64 v[49:50], v46 offset:21120
	v_bfe_u32 v35, v94, 8, 8
	v_bfe_u32 v39, v40, 16, 8
	v_mul_f32_e32 v100, v51, v54
	v_lshlrev_b32_sdwa v17, v17, v94 dst_sel:DWORD dst_unused:UNUSED_PAD src0_sel:DWORD src1_sel:BYTE_0
	s_waitcnt vmcnt(21)
	v_mul_f32_e32 v37, v64, v66
	v_lshl_or_b32 v38, v35, 3, 0x800
	v_lshl_or_b32 v39, v39, 3, 0x1000
	v_fmac_f32_e32 v100, v52, v53
	v_fmac_f32_e32 v57, v60, v61
	v_mul_f32_e32 v60, v63, v66
	s_clause 0x1
	global_load_dwordx2 v[35:36], v17, s[4:5]
	global_load_dwordx2 v[39:40], v39, s[4:5]
	v_fma_f32 v17, v63, v65, -v37
	global_load_dwordx2 v[37:38], v38, s[4:5]
	s_waitcnt vmcnt(22)
	v_mul_f32_e32 v44, v68, v70
	v_mul_f32_e32 v61, v67, v70
	v_bfe_u32 v53, v92, 16, 8
	v_bfe_u32 v54, v87, 16, 8
	;; [unrolled: 1-line block ×3, first 2 shown]
	v_fmac_f32_e32 v60, v64, v65
	v_fma_f32 v62, v67, v69, -v44
	v_fmac_f32_e32 v61, v68, v69
	s_waitcnt vmcnt(20)
	v_mul_f32_e32 v44, v72, v74
	s_waitcnt vmcnt(18)
	v_mul_f32_e32 v56, v76, v78
	v_lshl_or_b32 v53, v53, 3, 0x1000
	v_lshl_or_b32 v65, v54, 3, 0x1000
	;; [unrolled: 1-line block ×3, first 2 shown]
	s_waitcnt vmcnt(17) lgkmcnt(0)
	v_mul_f32_e32 v68, v50, v80
	v_mul_f32_e32 v69, v49, v80
	v_fma_f32 v63, v71, v73, -v44
	ds_read_b64 v[51:52], v18
	ds_read_b64 v[44:45], v45
	v_fma_f32 v67, v75, v77, -v56
	s_clause 0x1
	global_load_dwordx2 v[53:54], v53, s[4:5]
	global_load_dwordx2 v[55:56], v65, s[4:5]
	v_fma_f32 v65, v49, v79, -v68
	v_fmac_f32_e32 v69, v50, v79
	global_load_dwordx2 v[49:50], v66, s[4:5]
	v_mul_f32_e32 v46, v71, v74
	ds_read_b32 v18, v18
	v_mul_f32_e32 v64, v75, v78
	v_sub_f32_e32 v74, v47, v82
	v_sub_f32_e32 v78, v84, v90
	v_fmac_f32_e32 v46, v72, v73
	v_sub_f32_e32 v65, v86, v65
	v_fmac_f32_e32 v64, v76, v77
	v_sub_f32_e32 v77, v81, v83
	v_fma_f32 v47, v47, 2.0, -v74
	v_sub_f32_e32 v69, v85, v69
	s_waitcnt lgkmcnt(2)
	v_sub_f32_e32 v51, v51, v96
	s_waitcnt vmcnt(18)
	v_mul_f32_e32 v66, v6, v14
	v_mul_f32_e32 v68, v5, v14
	v_cndmask_b32_e64 v14, 0, 0xf0, vcc_lo
	s_waitcnt vmcnt(17)
	v_mul_f32_e32 v70, v99, v8
	v_fma_f32 v66, v5, v13, -v66
	v_fmac_f32_e32 v68, v6, v13
	v_mad_u64_u32 v[5:6], null, s8, v41, 0
	v_mul_f32_e32 v13, v9, v8
	s_waitcnt vmcnt(16)
	v_mul_f32_e32 v8, v100, v2
	v_mul_f32_e32 v72, v101, v2
	v_add_nc_u32_e32 v71, v24, v14
	v_fmac_f32_e32 v70, v7, v9
	v_fma_f32 v24, v7, v99, -v13
	v_mov_b32_e32 v2, v6
	v_fma_f32 v6, v1, v101, -v8
	v_fmac_f32_e32 v72, v1, v100
	s_waitcnt lgkmcnt(1)
	v_sub_f32_e32 v1, v45, v95
	v_sub_f32_e32 v9, v44, v12
	;; [unrolled: 1-line block ×5, first 2 shown]
	s_waitcnt vmcnt(15)
	v_mul_f32_e32 v80, v57, v16
	v_fma_f32 v44, v44, 2.0, -v9
	s_waitcnt vmcnt(14)
	v_mul_f32_e32 v79, v58, v4
	v_mul_f32_e32 v4, v102, v4
	v_add_f32_e32 v75, v1, v12
	v_fma_f32 v76, v97, 2.0, -v13
	v_sub_f32_e32 v13, v9, v13
	v_fma_f32 v12, v98, 2.0, -v12
	v_mul_f32_e32 v16, v59, v16
	v_fma_f32 v79, v3, v102, -v79
	s_waitcnt vmcnt(13)
	v_mul_f32_e32 v82, v60, v23
	v_fmac_f32_e32 v4, v3, v58
	v_mul_f32_e32 v3, v17, v23
	s_waitcnt vmcnt(11)
	v_mul_f32_e32 v23, v61, v21
	v_mul_f32_e32 v21, v62, v21
	v_fma_f32 v58, v15, v59, -v80
	v_mul_f32_e32 v59, v46, v11
	v_mul_f32_e32 v11, v63, v11
	v_fma_f32 v45, v45, 2.0, -v1
	v_fma_f32 v48, v48, 2.0, -v14
	v_fmac_f32_e32 v16, v15, v57
	v_sub_f32_e32 v57, v52, v93
	v_sub_f32_e32 v80, v44, v12
	v_fma_f32 v1, v1, 2.0, -v75
	s_waitcnt vmcnt(10)
	v_mul_f32_e32 v15, v64, v26
	v_mul_f32_e32 v26, v67, v26
	v_fma_f32 v83, v9, 2.0, -v13
	v_fma_f32 v9, v81, 2.0, -v77
	v_add_f32_e32 v77, v14, v77
	v_fma_f32 v12, v84, 2.0, -v78
	v_sub_f32_e32 v78, v74, v78
	v_fma_f32 v17, v22, v17, -v82
	s_waitcnt vmcnt(8)
	v_mul_f32_e32 v81, v28, v30
	v_fmac_f32_e32 v3, v22, v60
	v_mul_f32_e32 v22, v27, v30
	s_waitcnt vmcnt(6)
	v_mul_f32_e32 v30, v32, v34
	v_mul_f32_e32 v34, v31, v34
	v_fma_f32 v23, v20, v62, -v23
	v_fmac_f32_e32 v21, v20, v61
	v_fma_f32 v20, v10, v63, -v59
	v_fmac_f32_e32 v11, v10, v46
	v_sub_f32_e32 v76, v45, v76
	v_fma_f32 v46, v25, v67, -v15
	v_fmac_f32_e32 v26, v25, v64
	v_add_f32_e32 v59, v57, v65
	v_fma_f32 v15, v52, 2.0, -v57
	v_fma_f32 v25, v85, 2.0, -v69
	s_waitcnt lgkmcnt(0)
	v_fma_f32 v60, v18, 2.0, -v51
	s_waitcnt vmcnt(3)
	v_mul_f32_e32 v10, v36, v38
	v_mul_f32_e32 v38, v35, v38
	v_fma_f32 v18, v86, 2.0, -v65
	v_sub_f32_e32 v61, v48, v12
	v_sub_f32_e32 v62, v47, v9
	v_fma_f32 v63, v14, 2.0, -v77
	v_fma_f32 v64, v74, 2.0, -v78
	v_fma_f32 v27, v27, v29, -v81
	v_fmac_f32_e32 v22, v28, v29
	v_fma_f32 v28, v31, v33, -v30
	v_fmac_f32_e32 v34, v32, v33
	v_fma_f32 v29, v35, v37, -v10
	v_mul_f32_e32 v9, v68, v40
	v_mul_f32_e32 v30, v66, v40
	;; [unrolled: 1-line block ×4, first 2 shown]
	v_fma_f32 v45, v45, 2.0, -v76
	v_fma_f32 v44, v44, 2.0, -v80
	v_fmac_f32_e32 v38, v36, v37
	v_mul_f32_e32 v32, v76, v16
	v_mul_f32_e32 v12, v83, v3
	;; [unrolled: 1-line block ×4, first 2 shown]
	v_sub_f32_e32 v36, v15, v25
	v_sub_f32_e32 v37, v60, v18
	v_fma_f32 v40, v57, 2.0, -v59
	v_mul_f32_e32 v18, v62, v11
	v_mul_f32_e32 v57, v61, v11
	;; [unrolled: 1-line block ×4, first 2 shown]
	v_fma_f32 v26, v39, v66, -v9
	v_fmac_f32_e32 v30, v39, v68
	v_fma_f32 v3, v13, v79, -v31
	v_fma_f32 v11, v83, v17, -v33
	s_waitcnt vmcnt(1)
	v_mul_f32_e32 v31, v27, v56
	v_mul_f32_e32 v33, v28, v54
	s_waitcnt vmcnt(0)
	v_mul_f32_e32 v39, v29, v50
	v_sub_f32_e32 v52, v51, v69
	v_mul_f32_e32 v4, v13, v4
	v_mul_f32_e32 v10, v80, v16
	v_mul_f32_e32 v16, v44, v70
	v_mul_f32_e32 v25, v45, v70
	v_fma_f32 v9, v80, v58, -v32
	v_fmac_f32_e32 v12, v1, v17
	v_fma_f32 v13, v78, v23, -v35
	v_mul_f32_e32 v1, v22, v56
	v_mul_f32_e32 v32, v34, v54
	;; [unrolled: 1-line block ×3, first 2 shown]
	v_fma_f32 v50, v15, 2.0, -v36
	v_fma_f32 v54, v60, 2.0, -v37
	v_fmac_f32_e32 v31, v55, v22
	v_fmac_f32_e32 v33, v53, v34
	;; [unrolled: 1-line block ×3, first 2 shown]
	v_mad_u64_u32 v[7:8], null, s0, v71, 0
	v_add_nc_u32_e32 v73, 60, v71
	v_fma_f32 v51, v51, 2.0, -v52
	v_fma_f32 v15, v44, v24, -v25
	v_fmac_f32_e32 v16, v45, v24
	v_fmac_f32_e32 v18, v61, v20
	v_fma_f32 v17, v62, v20, -v57
	v_fma_f32 v1, v55, v27, -v1
	;; [unrolled: 1-line block ×4, first 2 shown]
	v_mul_f32_e32 v25, v54, v30
	v_mul_f32_e32 v24, v50, v30
	;; [unrolled: 1-line block ×7, first 2 shown]
	v_fmac_f32_e32 v25, v50, v26
	v_fma_f32 v24, v54, v26, -v24
	v_fma_f32 v26, v52, v1, -v28
	;; [unrolled: 1-line block ×4, first 2 shown]
	v_mad_u64_u32 v[32:33], null, s0, v73, 0
	v_fmac_f32_e32 v27, v59, v1
	v_mad_u64_u32 v[1:2], null, s9, v41, v[2:3]
	v_fma_f32 v48, v48, 2.0, -v61
	v_fma_f32 v47, v47, 2.0, -v62
	v_mov_b32_e32 v2, v8
	v_fmac_f32_e32 v14, v77, v23
	v_mul_f32_e32 v31, v51, v39
	v_mul_f32_e32 v44, v48, v72
	v_mul_f32_e32 v23, v47, v72
	v_mad_u64_u32 v[34:35], null, s1, v71, v[2:3]
	v_mov_b32_e32 v2, v33
	v_fmac_f32_e32 v31, v40, v22
	v_fmac_f32_e32 v23, v48, v6
	v_fma_f32 v22, v47, v6, -v44
	v_mov_b32_e32 v6, v1
	v_mad_u64_u32 v[1:2], null, s1, v73, v[2:3]
	v_mov_b32_e32 v8, v34
	v_fmac_f32_e32 v29, v36, v20
	v_lshlrev_b64 v[5:6], 3, v[5:6]
	v_add_nc_u32_e32 v36, 0x78, v71
	v_add_nc_u32_e32 v39, 0xb4, v71
	v_lshlrev_b64 v[7:8], 3, v[7:8]
	v_mov_b32_e32 v33, v1
	v_fmac_f32_e32 v21, v63, v46
	v_add_co_u32 v37, vcc_lo, s2, v5
	v_add_co_ci_u32_e32 v38, vcc_lo, s3, v6, vcc_lo
	v_lshlrev_b64 v[1:2], 3, v[32:33]
	v_mad_u64_u32 v[34:35], null, s0, v36, 0
	v_add_co_u32 v6, vcc_lo, v37, v7
	v_add_co_ci_u32_e32 v7, vcc_lo, v38, v8, vcc_lo
	v_add_co_u32 v1, vcc_lo, v37, v1
	v_add_co_ci_u32_e32 v2, vcc_lo, v38, v2, vcc_lo
	v_mov_b32_e32 v5, v35
	v_mad_u64_u32 v[32:33], null, s0, v39, 0
	v_cmp_lt_u32_e32 vcc_lo, 0x1df, v0
	v_fma_f32 v20, v64, v46, -v65
	v_mad_u64_u32 v[35:36], null, s1, v36, v[5:6]
	global_store_dwordx2 v[6:7], v[22:23], off
	v_cndmask_b32_e64 v5, 0, 0xb4, vcc_lo
	v_mov_b32_e32 v0, v33
	global_store_dwordx2 v[1:2], v[20:21], off
	v_fmac_f32_e32 v10, v76, v58
	v_fmac_f32_e32 v4, v75, v79
	v_add_nc_u32_e32 v36, v42, v5
	v_mad_u64_u32 v[0:1], null, s1, v39, v[0:1]
	v_lshlrev_b64 v[1:2], 3, v[34:35]
	v_add_nc_u32_e32 v39, 60, v36
	v_mad_u64_u32 v[5:6], null, s0, v36, 0
	v_add_nc_u32_e32 v35, 0x78, v36
	v_mov_b32_e32 v33, v0
	v_mad_u64_u32 v[7:8], null, s0, v39, 0
	v_add_co_u32 v0, vcc_lo, v37, v1
	v_add_co_ci_u32_e32 v1, vcc_lo, v38, v2, vcc_lo
	v_mov_b32_e32 v2, v6
	v_lshlrev_b64 v[20:21], 3, v[32:33]
	v_mov_b32_e32 v6, v8
	global_store_dwordx2 v[0:1], v[17:18], off
	v_mad_u64_u32 v[22:23], null, s1, v36, v[2:3]
	v_mad_u64_u32 v[32:33], null, s1, v39, v[6:7]
	;; [unrolled: 1-line block ×3, first 2 shown]
	v_add_co_u32 v20, vcc_lo, v37, v20
	v_mov_b32_e32 v6, v22
	v_add_co_ci_u32_e32 v21, vcc_lo, v38, v21, vcc_lo
	v_mov_b32_e32 v8, v32
	v_mov_b32_e32 v0, v34
	v_lshlrev_b64 v[1:2], 3, v[5:6]
	global_store_dwordx2 v[20:21], v[13:14], off
	v_mad_u64_u32 v[5:6], null, s1, v35, v[0:1]
	v_lshlrev_b64 v[6:7], 3, v[7:8]
	v_add_nc_u32_e32 v8, 0xb4, v36
	v_add_co_u32 v0, vcc_lo, v37, v1
	v_add_co_ci_u32_e32 v1, vcc_lo, v38, v2, vcc_lo
	v_mad_u64_u32 v[13:14], null, s0, v8, 0
	v_mov_b32_e32 v34, v5
	v_add_co_u32 v5, vcc_lo, v37, v6
	v_add_co_ci_u32_e32 v6, vcc_lo, v38, v7, vcc_lo
	v_and_b32_e32 v7, 0xffff, v19
	v_mov_b32_e32 v2, v14
	global_store_dwordx2 v[0:1], v[15:16], off
	v_lshlrev_b64 v[0:1], 3, v[33:34]
	global_store_dwordx2 v[5:6], v[11:12], off
	v_mad_u32_u24 v15, 0xb4, v7, v43
	v_mad_u64_u32 v[5:6], null, s1, v8, v[2:3]
	v_add_co_u32 v0, vcc_lo, v37, v0
	v_mad_u64_u32 v[6:7], null, s0, v15, 0
	v_add_co_ci_u32_e32 v1, vcc_lo, v38, v1, vcc_lo
	v_add_nc_u32_e32 v16, 60, v15
	v_add_nc_u32_e32 v17, 0x78, v15
	v_mov_b32_e32 v14, v5
	global_store_dwordx2 v[0:1], v[9:10], off
	v_mov_b32_e32 v2, v7
	v_mad_u64_u32 v[0:1], null, s0, v16, 0
	v_mad_u64_u32 v[8:9], null, s0, v17, 0
	v_lshlrev_b64 v[10:11], 3, v[13:14]
	v_mad_u64_u32 v[12:13], null, s1, v15, v[2:3]
	v_add_nc_u32_e32 v5, 0xb4, v15
	v_mad_u64_u32 v[1:2], null, s1, v16, v[1:2]
	v_mov_b32_e32 v2, v9
	v_add_co_u32 v9, vcc_lo, v37, v10
	v_mad_u64_u32 v[13:14], null, s0, v5, 0
	v_add_co_ci_u32_e32 v10, vcc_lo, v38, v11, vcc_lo
	v_mov_b32_e32 v7, v12
	v_mad_u64_u32 v[11:12], null, s1, v17, v[2:3]
	global_store_dwordx2 v[9:10], v[3:4], off
	v_mov_b32_e32 v2, v14
	v_lshlrev_b64 v[3:4], 3, v[6:7]
	v_lshlrev_b64 v[0:1], 3, v[0:1]
	v_mov_b32_e32 v9, v11
	v_mad_u64_u32 v[5:6], null, s1, v5, v[2:3]
	v_add_co_u32 v2, vcc_lo, v37, v3
	v_lshlrev_b64 v[6:7], 3, v[8:9]
	v_add_co_ci_u32_e32 v3, vcc_lo, v38, v4, vcc_lo
	v_add_co_u32 v0, vcc_lo, v37, v0
	v_mov_b32_e32 v14, v5
	v_add_co_ci_u32_e32 v1, vcc_lo, v38, v1, vcc_lo
	v_add_co_u32 v6, vcc_lo, v37, v6
	v_lshlrev_b64 v[4:5], 3, v[13:14]
	v_add_co_ci_u32_e32 v7, vcc_lo, v38, v7, vcc_lo
	v_add_co_u32 v4, vcc_lo, v37, v4
	v_add_co_ci_u32_e32 v5, vcc_lo, v38, v5, vcc_lo
	global_store_dwordx2 v[2:3], v[24:25], off
	global_store_dwordx2 v[0:1], v[30:31], off
	;; [unrolled: 1-line block ×4, first 2 shown]
.LBB0_20:
	s_endpgm
	.section	.rodata,"a",@progbits
	.p2align	6, 0x0
	.amdhsa_kernel fft_rtc_fwd_len240_factors_4_5_3_4_wgs_240_tpt_20_dim3_sp_ip_CI_sbcc_twdbase8_3step_dirReg
		.amdhsa_group_segment_fixed_size 0
		.amdhsa_private_segment_fixed_size 0
		.amdhsa_kernarg_size 88
		.amdhsa_user_sgpr_count 6
		.amdhsa_user_sgpr_private_segment_buffer 1
		.amdhsa_user_sgpr_dispatch_ptr 0
		.amdhsa_user_sgpr_queue_ptr 0
		.amdhsa_user_sgpr_kernarg_segment_ptr 1
		.amdhsa_user_sgpr_dispatch_id 0
		.amdhsa_user_sgpr_flat_scratch_init 0
		.amdhsa_user_sgpr_private_segment_size 0
		.amdhsa_wavefront_size32 1
		.amdhsa_uses_dynamic_stack 0
		.amdhsa_system_sgpr_private_segment_wavefront_offset 0
		.amdhsa_system_sgpr_workgroup_id_x 1
		.amdhsa_system_sgpr_workgroup_id_y 0
		.amdhsa_system_sgpr_workgroup_id_z 0
		.amdhsa_system_sgpr_workgroup_info 0
		.amdhsa_system_vgpr_workitem_id 0
		.amdhsa_next_free_vgpr 103
		.amdhsa_next_free_sgpr 26
		.amdhsa_reserve_vcc 1
		.amdhsa_reserve_flat_scratch 0
		.amdhsa_float_round_mode_32 0
		.amdhsa_float_round_mode_16_64 0
		.amdhsa_float_denorm_mode_32 3
		.amdhsa_float_denorm_mode_16_64 3
		.amdhsa_dx10_clamp 1
		.amdhsa_ieee_mode 1
		.amdhsa_fp16_overflow 0
		.amdhsa_workgroup_processor_mode 1
		.amdhsa_memory_ordered 1
		.amdhsa_forward_progress 0
		.amdhsa_shared_vgpr_count 0
		.amdhsa_exception_fp_ieee_invalid_op 0
		.amdhsa_exception_fp_denorm_src 0
		.amdhsa_exception_fp_ieee_div_zero 0
		.amdhsa_exception_fp_ieee_overflow 0
		.amdhsa_exception_fp_ieee_underflow 0
		.amdhsa_exception_fp_ieee_inexact 0
		.amdhsa_exception_int_div_zero 0
	.end_amdhsa_kernel
	.text
.Lfunc_end0:
	.size	fft_rtc_fwd_len240_factors_4_5_3_4_wgs_240_tpt_20_dim3_sp_ip_CI_sbcc_twdbase8_3step_dirReg, .Lfunc_end0-fft_rtc_fwd_len240_factors_4_5_3_4_wgs_240_tpt_20_dim3_sp_ip_CI_sbcc_twdbase8_3step_dirReg
                                        ; -- End function
	.section	.AMDGPU.csdata,"",@progbits
; Kernel info:
; codeLenInByte = 9148
; NumSgprs: 28
; NumVgprs: 103
; ScratchSize: 0
; MemoryBound: 0
; FloatMode: 240
; IeeeMode: 1
; LDSByteSize: 0 bytes/workgroup (compile time only)
; SGPRBlocks: 3
; VGPRBlocks: 12
; NumSGPRsForWavesPerEU: 28
; NumVGPRsForWavesPerEU: 103
; Occupancy: 9
; WaveLimiterHint : 1
; COMPUTE_PGM_RSRC2:SCRATCH_EN: 0
; COMPUTE_PGM_RSRC2:USER_SGPR: 6
; COMPUTE_PGM_RSRC2:TRAP_HANDLER: 0
; COMPUTE_PGM_RSRC2:TGID_X_EN: 1
; COMPUTE_PGM_RSRC2:TGID_Y_EN: 0
; COMPUTE_PGM_RSRC2:TGID_Z_EN: 0
; COMPUTE_PGM_RSRC2:TIDIG_COMP_CNT: 0
	.text
	.p2alignl 6, 3214868480
	.fill 48, 4, 3214868480
	.type	__hip_cuid_4350e03b40f62e90,@object ; @__hip_cuid_4350e03b40f62e90
	.section	.bss,"aw",@nobits
	.globl	__hip_cuid_4350e03b40f62e90
__hip_cuid_4350e03b40f62e90:
	.byte	0                               ; 0x0
	.size	__hip_cuid_4350e03b40f62e90, 1

	.ident	"AMD clang version 19.0.0git (https://github.com/RadeonOpenCompute/llvm-project roc-6.4.0 25133 c7fe45cf4b819c5991fe208aaa96edf142730f1d)"
	.section	".note.GNU-stack","",@progbits
	.addrsig
	.addrsig_sym __hip_cuid_4350e03b40f62e90
	.amdgpu_metadata
---
amdhsa.kernels:
  - .args:
      - .actual_access:  read_only
        .address_space:  global
        .offset:         0
        .size:           8
        .value_kind:     global_buffer
      - .address_space:  global
        .offset:         8
        .size:           8
        .value_kind:     global_buffer
      - .actual_access:  read_only
        .address_space:  global
        .offset:         16
        .size:           8
        .value_kind:     global_buffer
      - .actual_access:  read_only
        .address_space:  global
        .offset:         24
        .size:           8
        .value_kind:     global_buffer
      - .offset:         32
        .size:           8
        .value_kind:     by_value
      - .actual_access:  read_only
        .address_space:  global
        .offset:         40
        .size:           8
        .value_kind:     global_buffer
      - .actual_access:  read_only
        .address_space:  global
        .offset:         48
        .size:           8
        .value_kind:     global_buffer
      - .offset:         56
        .size:           4
        .value_kind:     by_value
      - .actual_access:  read_only
        .address_space:  global
        .offset:         64
        .size:           8
        .value_kind:     global_buffer
      - .actual_access:  read_only
        .address_space:  global
        .offset:         72
        .size:           8
        .value_kind:     global_buffer
      - .address_space:  global
        .offset:         80
        .size:           8
        .value_kind:     global_buffer
    .group_segment_fixed_size: 0
    .kernarg_segment_align: 8
    .kernarg_segment_size: 88
    .language:       OpenCL C
    .language_version:
      - 2
      - 0
    .max_flat_workgroup_size: 240
    .name:           fft_rtc_fwd_len240_factors_4_5_3_4_wgs_240_tpt_20_dim3_sp_ip_CI_sbcc_twdbase8_3step_dirReg
    .private_segment_fixed_size: 0
    .sgpr_count:     28
    .sgpr_spill_count: 0
    .symbol:         fft_rtc_fwd_len240_factors_4_5_3_4_wgs_240_tpt_20_dim3_sp_ip_CI_sbcc_twdbase8_3step_dirReg.kd
    .uniform_work_group_size: 1
    .uses_dynamic_stack: false
    .vgpr_count:     103
    .vgpr_spill_count: 0
    .wavefront_size: 32
    .workgroup_processor_mode: 1
amdhsa.target:   amdgcn-amd-amdhsa--gfx1030
amdhsa.version:
  - 1
  - 2
...

	.end_amdgpu_metadata
